;; amdgpu-corpus repo=zjin-lcf/HeCBench kind=compiled arch=gfx906 opt=O3
	.amdgcn_target "amdgcn-amd-amdhsa--gfx906"
	.amdhsa_code_object_version 6
	.section	.text._Z23store_kv_cache_256x1_v4ImEvPmS0_PKT_mPKmS5_mmm,"axG",@progbits,_Z23store_kv_cache_256x1_v4ImEvPmS0_PKT_mPKmS5_mmm,comdat
	.protected	_Z23store_kv_cache_256x1_v4ImEvPmS0_PKT_mPKmS5_mmm ; -- Begin function _Z23store_kv_cache_256x1_v4ImEvPmS0_PKT_mPKmS5_mmm
	.globl	_Z23store_kv_cache_256x1_v4ImEvPmS0_PKT_mPKmS5_mmm
	.p2align	8
	.type	_Z23store_kv_cache_256x1_v4ImEvPmS0_PKT_mPKmS5_mmm,@function
_Z23store_kv_cache_256x1_v4ImEvPmS0_PKT_mPKmS5_mmm: ; @_Z23store_kv_cache_256x1_v4ImEvPmS0_PKT_mPKmS5_mmm
; %bb.0:
	s_load_dword s2, s[4:5], 0x54
	s_load_dwordx2 s[0:1], s[4:5], 0x18
	v_mov_b32_e32 v1, 0
	s_waitcnt lgkmcnt(0)
	s_and_b32 s2, s2, 0xffff
	s_mul_i32 s6, s6, s2
	v_add_u32_e32 v2, s6, v0
	v_lshrrev_b32_e32 v0, 6, v2
	v_cmp_gt_u64_e32 vcc, s[0:1], v[0:1]
	s_and_saveexec_b64 s[0:1], vcc
	s_cbranch_execz .LBB0_4
; %bb.1:
	s_load_dwordx2 s[6:7], s[4:5], 0x40
	s_waitcnt lgkmcnt(0)
	s_cmp_eq_u64 s[6:7], 0
	s_cbranch_scc1 .LBB0_4
; %bb.2:
	s_load_dwordx2 s[0:1], s[4:5], 0x10
	v_lshlrev_b32_e32 v1, 3, v0
	s_waitcnt lgkmcnt(0)
	global_load_dwordx2 v[3:4], v1, s[0:1]
	s_load_dwordx8 s[8:15], s[4:5], 0x20
	s_load_dwordx4 s[0:3], s[4:5], 0x0
	v_and_b32_e32 v1, 63, v2
	v_lshlrev_b32_e32 v7, 5, v1
	s_waitcnt lgkmcnt(0)
	v_mad_u64_u32 v[5:6], s[4:5], s14, v0, 0
	v_mov_b32_e32 v10, s11
	v_mov_b32_e32 v8, s1
	;; [unrolled: 1-line block ×3, first 2 shown]
	v_mad_u64_u32 v[0:1], s[4:5], s15, v0, v[1:2]
	v_mov_b32_e32 v2, s9
	v_mov_b32_e32 v9, s3
	;; [unrolled: 1-line block ×3, first 2 shown]
	v_lshlrev_b64 v[0:1], 3, v[5:6]
	v_add_co_u32_e32 v6, vcc, v0, v7
	v_addc_co_u32_e32 v11, vcc, 0, v1, vcc
	v_add_co_u32_e32 v0, vcc, s8, v6
	v_addc_co_u32_e32 v1, vcc, v2, v11, vcc
	v_add_co_u32_e32 v2, vcc, s10, v6
	s_waitcnt vmcnt(0)
	v_mul_lo_u32 v12, v4, s12
	v_mul_lo_u32 v13, v3, s13
	v_mad_u64_u32 v[4:5], s[4:5], v3, s12, 0
	v_addc_co_u32_e32 v3, vcc, v10, v11, vcc
	v_add3_u32 v5, v5, v13, v12
	v_lshlrev_b64 v[4:5], 3, v[4:5]
	v_add_co_u32_e32 v6, vcc, v4, v7
	v_addc_co_u32_e32 v7, vcc, 0, v5, vcc
	v_add_co_u32_e32 v4, vcc, s0, v6
	v_addc_co_u32_e32 v5, vcc, v8, v7, vcc
	;; [unrolled: 2-line block ×3, first 2 shown]
	s_movk_i32 s0, 0x800
.LBB0_3:                                ; =>This Inner Loop Header: Depth=1
	global_load_dwordx4 v[8:11], v[0:1], off
	global_load_dwordx4 v[12:15], v[0:1], off offset:16
	global_load_dwordx4 v[16:19], v[2:3], off
	s_add_u32 s6, s6, -1
	s_addc_u32 s7, s7, -1
	s_cmp_lg_u64 s[6:7], 0
	s_waitcnt vmcnt(2)
	global_store_dwordx4 v[4:5], v[8:11], off
	global_load_dwordx4 v[8:11], v[2:3], off offset:16
	s_waitcnt vmcnt(3)
	global_store_dwordx4 v[4:5], v[12:15], off offset:16
	s_waitcnt vmcnt(3)
	global_store_dwordx4 v[6:7], v[16:19], off
	s_waitcnt vmcnt(2)
	global_store_dwordx4 v[6:7], v[8:11], off offset:16
	v_add_co_u32_e32 v4, vcc, s0, v4
	v_addc_co_u32_e32 v5, vcc, 0, v5, vcc
	v_add_co_u32_e32 v0, vcc, 0x800, v0
	v_addc_co_u32_e32 v1, vcc, 0, v1, vcc
	;; [unrolled: 2-line block ×4, first 2 shown]
	s_cbranch_scc1 .LBB0_3
.LBB0_4:
	s_endpgm
	.section	.rodata,"a",@progbits
	.p2align	6, 0x0
	.amdhsa_kernel _Z23store_kv_cache_256x1_v4ImEvPmS0_PKT_mPKmS5_mmm
		.amdhsa_group_segment_fixed_size 0
		.amdhsa_private_segment_fixed_size 0
		.amdhsa_kernarg_size 328
		.amdhsa_user_sgpr_count 6
		.amdhsa_user_sgpr_private_segment_buffer 1
		.amdhsa_user_sgpr_dispatch_ptr 0
		.amdhsa_user_sgpr_queue_ptr 0
		.amdhsa_user_sgpr_kernarg_segment_ptr 1
		.amdhsa_user_sgpr_dispatch_id 0
		.amdhsa_user_sgpr_flat_scratch_init 0
		.amdhsa_user_sgpr_private_segment_size 0
		.amdhsa_uses_dynamic_stack 0
		.amdhsa_system_sgpr_private_segment_wavefront_offset 0
		.amdhsa_system_sgpr_workgroup_id_x 1
		.amdhsa_system_sgpr_workgroup_id_y 0
		.amdhsa_system_sgpr_workgroup_id_z 0
		.amdhsa_system_sgpr_workgroup_info 0
		.amdhsa_system_vgpr_workitem_id 0
		.amdhsa_next_free_vgpr 20
		.amdhsa_next_free_sgpr 16
		.amdhsa_reserve_vcc 1
		.amdhsa_reserve_flat_scratch 0
		.amdhsa_float_round_mode_32 0
		.amdhsa_float_round_mode_16_64 0
		.amdhsa_float_denorm_mode_32 3
		.amdhsa_float_denorm_mode_16_64 3
		.amdhsa_dx10_clamp 1
		.amdhsa_ieee_mode 1
		.amdhsa_fp16_overflow 0
		.amdhsa_exception_fp_ieee_invalid_op 0
		.amdhsa_exception_fp_denorm_src 0
		.amdhsa_exception_fp_ieee_div_zero 0
		.amdhsa_exception_fp_ieee_overflow 0
		.amdhsa_exception_fp_ieee_underflow 0
		.amdhsa_exception_fp_ieee_inexact 0
		.amdhsa_exception_int_div_zero 0
	.end_amdhsa_kernel
	.section	.text._Z23store_kv_cache_256x1_v4ImEvPmS0_PKT_mPKmS5_mmm,"axG",@progbits,_Z23store_kv_cache_256x1_v4ImEvPmS0_PKT_mPKmS5_mmm,comdat
.Lfunc_end0:
	.size	_Z23store_kv_cache_256x1_v4ImEvPmS0_PKT_mPKmS5_mmm, .Lfunc_end0-_Z23store_kv_cache_256x1_v4ImEvPmS0_PKT_mPKmS5_mmm
                                        ; -- End function
	.set _Z23store_kv_cache_256x1_v4ImEvPmS0_PKT_mPKmS5_mmm.num_vgpr, 20
	.set _Z23store_kv_cache_256x1_v4ImEvPmS0_PKT_mPKmS5_mmm.num_agpr, 0
	.set _Z23store_kv_cache_256x1_v4ImEvPmS0_PKT_mPKmS5_mmm.numbered_sgpr, 16
	.set _Z23store_kv_cache_256x1_v4ImEvPmS0_PKT_mPKmS5_mmm.num_named_barrier, 0
	.set _Z23store_kv_cache_256x1_v4ImEvPmS0_PKT_mPKmS5_mmm.private_seg_size, 0
	.set _Z23store_kv_cache_256x1_v4ImEvPmS0_PKT_mPKmS5_mmm.uses_vcc, 1
	.set _Z23store_kv_cache_256x1_v4ImEvPmS0_PKT_mPKmS5_mmm.uses_flat_scratch, 0
	.set _Z23store_kv_cache_256x1_v4ImEvPmS0_PKT_mPKmS5_mmm.has_dyn_sized_stack, 0
	.set _Z23store_kv_cache_256x1_v4ImEvPmS0_PKT_mPKmS5_mmm.has_recursion, 0
	.set _Z23store_kv_cache_256x1_v4ImEvPmS0_PKT_mPKmS5_mmm.has_indirect_call, 0
	.section	.AMDGPU.csdata,"",@progbits
; Kernel info:
; codeLenInByte = 416
; TotalNumSgprs: 20
; NumVgprs: 20
; ScratchSize: 0
; MemoryBound: 0
; FloatMode: 240
; IeeeMode: 1
; LDSByteSize: 0 bytes/workgroup (compile time only)
; SGPRBlocks: 2
; VGPRBlocks: 4
; NumSGPRsForWavesPerEU: 20
; NumVGPRsForWavesPerEU: 20
; Occupancy: 10
; WaveLimiterHint : 0
; COMPUTE_PGM_RSRC2:SCRATCH_EN: 0
; COMPUTE_PGM_RSRC2:USER_SGPR: 6
; COMPUTE_PGM_RSRC2:TRAP_HANDLER: 0
; COMPUTE_PGM_RSRC2:TGID_X_EN: 1
; COMPUTE_PGM_RSRC2:TGID_Y_EN: 0
; COMPUTE_PGM_RSRC2:TGID_Z_EN: 0
; COMPUTE_PGM_RSRC2:TIDIG_COMP_CNT: 0
	.section	.text._Z23store_kv_cache_256x1_v2ImEvPmS0_PKT_mPKmS5_mmm,"axG",@progbits,_Z23store_kv_cache_256x1_v2ImEvPmS0_PKT_mPKmS5_mmm,comdat
	.protected	_Z23store_kv_cache_256x1_v2ImEvPmS0_PKT_mPKmS5_mmm ; -- Begin function _Z23store_kv_cache_256x1_v2ImEvPmS0_PKT_mPKmS5_mmm
	.globl	_Z23store_kv_cache_256x1_v2ImEvPmS0_PKT_mPKmS5_mmm
	.p2align	8
	.type	_Z23store_kv_cache_256x1_v2ImEvPmS0_PKT_mPKmS5_mmm,@function
_Z23store_kv_cache_256x1_v2ImEvPmS0_PKT_mPKmS5_mmm: ; @_Z23store_kv_cache_256x1_v2ImEvPmS0_PKT_mPKmS5_mmm
; %bb.0:
	s_load_dword s2, s[4:5], 0x54
	s_load_dwordx2 s[0:1], s[4:5], 0x18
	v_mov_b32_e32 v1, 0
	s_waitcnt lgkmcnt(0)
	s_and_b32 s2, s2, 0xffff
	s_mul_i32 s6, s6, s2
	v_add_u32_e32 v2, s6, v0
	v_lshrrev_b32_e32 v0, 6, v2
	v_cmp_gt_u64_e32 vcc, s[0:1], v[0:1]
	s_and_saveexec_b64 s[0:1], vcc
	s_cbranch_execz .LBB1_4
; %bb.1:
	s_load_dwordx2 s[6:7], s[4:5], 0x40
	s_waitcnt lgkmcnt(0)
	s_cmp_eq_u64 s[6:7], 0
	s_cbranch_scc1 .LBB1_4
; %bb.2:
	s_load_dwordx2 s[0:1], s[4:5], 0x10
	v_lshlrev_b32_e32 v1, 3, v0
	s_waitcnt lgkmcnt(0)
	global_load_dwordx2 v[3:4], v1, s[0:1]
	s_load_dwordx8 s[8:15], s[4:5], 0x20
	s_load_dwordx4 s[0:3], s[4:5], 0x0
	v_and_b32_e32 v1, 63, v2
	v_lshlrev_b32_e32 v7, 4, v1
	s_waitcnt lgkmcnt(0)
	v_mad_u64_u32 v[5:6], s[4:5], s14, v0, 0
	v_mov_b32_e32 v9, s9
	v_mov_b32_e32 v8, s1
	;; [unrolled: 1-line block ×3, first 2 shown]
	v_mad_u64_u32 v[0:1], s[4:5], s15, v0, v[1:2]
	v_mov_b32_e32 v10, s3
	v_mov_b32_e32 v11, s11
	;; [unrolled: 1-line block ×3, first 2 shown]
	v_lshlrev_b64 v[0:1], 3, v[5:6]
	v_add_co_u32_e32 v6, vcc, v0, v7
	v_addc_co_u32_e32 v12, vcc, 0, v1, vcc
	v_add_co_u32_e32 v0, vcc, s8, v6
	v_addc_co_u32_e32 v1, vcc, v9, v12, vcc
	s_waitcnt vmcnt(0)
	v_mul_lo_u32 v4, v4, s12
	v_mul_lo_u32 v5, v3, s13
	v_mad_u64_u32 v[2:3], s[4:5], v3, s12, 0
	v_add3_u32 v3, v3, v5, v4
	v_lshlrev_b64 v[2:3], 3, v[2:3]
	v_add_co_u32_e32 v4, vcc, v2, v7
	v_addc_co_u32_e32 v5, vcc, 0, v3, vcc
	v_add_co_u32_e32 v2, vcc, s0, v4
	v_addc_co_u32_e32 v3, vcc, v8, v5, vcc
	;; [unrolled: 2-line block ×4, first 2 shown]
.LBB1_3:                                ; =>This Inner Loop Header: Depth=1
	global_load_dwordx4 v[8:11], v[0:1], off
	global_load_dwordx4 v[12:15], v[6:7], off
	s_add_u32 s6, s6, -1
	s_addc_u32 s7, s7, -1
	s_cmp_lg_u64 s[6:7], 0
	s_waitcnt vmcnt(1)
	global_store_dwordx4 v[2:3], v[8:11], off
	s_waitcnt vmcnt(1)
	global_store_dwordx4 v[4:5], v[12:15], off
	v_add_co_u32_e32 v2, vcc, 0x400, v2
	v_addc_co_u32_e32 v3, vcc, 0, v3, vcc
	v_add_co_u32_e32 v0, vcc, 0x400, v0
	v_addc_co_u32_e32 v1, vcc, 0, v1, vcc
	;; [unrolled: 2-line block ×4, first 2 shown]
	s_cbranch_scc1 .LBB1_3
.LBB1_4:
	s_endpgm
	.section	.rodata,"a",@progbits
	.p2align	6, 0x0
	.amdhsa_kernel _Z23store_kv_cache_256x1_v2ImEvPmS0_PKT_mPKmS5_mmm
		.amdhsa_group_segment_fixed_size 0
		.amdhsa_private_segment_fixed_size 0
		.amdhsa_kernarg_size 328
		.amdhsa_user_sgpr_count 6
		.amdhsa_user_sgpr_private_segment_buffer 1
		.amdhsa_user_sgpr_dispatch_ptr 0
		.amdhsa_user_sgpr_queue_ptr 0
		.amdhsa_user_sgpr_kernarg_segment_ptr 1
		.amdhsa_user_sgpr_dispatch_id 0
		.amdhsa_user_sgpr_flat_scratch_init 0
		.amdhsa_user_sgpr_private_segment_size 0
		.amdhsa_uses_dynamic_stack 0
		.amdhsa_system_sgpr_private_segment_wavefront_offset 0
		.amdhsa_system_sgpr_workgroup_id_x 1
		.amdhsa_system_sgpr_workgroup_id_y 0
		.amdhsa_system_sgpr_workgroup_id_z 0
		.amdhsa_system_sgpr_workgroup_info 0
		.amdhsa_system_vgpr_workitem_id 0
		.amdhsa_next_free_vgpr 16
		.amdhsa_next_free_sgpr 16
		.amdhsa_reserve_vcc 1
		.amdhsa_reserve_flat_scratch 0
		.amdhsa_float_round_mode_32 0
		.amdhsa_float_round_mode_16_64 0
		.amdhsa_float_denorm_mode_32 3
		.amdhsa_float_denorm_mode_16_64 3
		.amdhsa_dx10_clamp 1
		.amdhsa_ieee_mode 1
		.amdhsa_fp16_overflow 0
		.amdhsa_exception_fp_ieee_invalid_op 0
		.amdhsa_exception_fp_denorm_src 0
		.amdhsa_exception_fp_ieee_div_zero 0
		.amdhsa_exception_fp_ieee_overflow 0
		.amdhsa_exception_fp_ieee_underflow 0
		.amdhsa_exception_fp_ieee_inexact 0
		.amdhsa_exception_int_div_zero 0
	.end_amdhsa_kernel
	.section	.text._Z23store_kv_cache_256x1_v2ImEvPmS0_PKT_mPKmS5_mmm,"axG",@progbits,_Z23store_kv_cache_256x1_v2ImEvPmS0_PKT_mPKmS5_mmm,comdat
.Lfunc_end1:
	.size	_Z23store_kv_cache_256x1_v2ImEvPmS0_PKT_mPKmS5_mmm, .Lfunc_end1-_Z23store_kv_cache_256x1_v2ImEvPmS0_PKT_mPKmS5_mmm
                                        ; -- End function
	.set _Z23store_kv_cache_256x1_v2ImEvPmS0_PKT_mPKmS5_mmm.num_vgpr, 16
	.set _Z23store_kv_cache_256x1_v2ImEvPmS0_PKT_mPKmS5_mmm.num_agpr, 0
	.set _Z23store_kv_cache_256x1_v2ImEvPmS0_PKT_mPKmS5_mmm.numbered_sgpr, 16
	.set _Z23store_kv_cache_256x1_v2ImEvPmS0_PKT_mPKmS5_mmm.num_named_barrier, 0
	.set _Z23store_kv_cache_256x1_v2ImEvPmS0_PKT_mPKmS5_mmm.private_seg_size, 0
	.set _Z23store_kv_cache_256x1_v2ImEvPmS0_PKT_mPKmS5_mmm.uses_vcc, 1
	.set _Z23store_kv_cache_256x1_v2ImEvPmS0_PKT_mPKmS5_mmm.uses_flat_scratch, 0
	.set _Z23store_kv_cache_256x1_v2ImEvPmS0_PKT_mPKmS5_mmm.has_dyn_sized_stack, 0
	.set _Z23store_kv_cache_256x1_v2ImEvPmS0_PKT_mPKmS5_mmm.has_recursion, 0
	.set _Z23store_kv_cache_256x1_v2ImEvPmS0_PKT_mPKmS5_mmm.has_indirect_call, 0
	.section	.AMDGPU.csdata,"",@progbits
; Kernel info:
; codeLenInByte = 376
; TotalNumSgprs: 20
; NumVgprs: 16
; ScratchSize: 0
; MemoryBound: 0
; FloatMode: 240
; IeeeMode: 1
; LDSByteSize: 0 bytes/workgroup (compile time only)
; SGPRBlocks: 2
; VGPRBlocks: 3
; NumSGPRsForWavesPerEU: 20
; NumVGPRsForWavesPerEU: 16
; Occupancy: 10
; WaveLimiterHint : 0
; COMPUTE_PGM_RSRC2:SCRATCH_EN: 0
; COMPUTE_PGM_RSRC2:USER_SGPR: 6
; COMPUTE_PGM_RSRC2:TRAP_HANDLER: 0
; COMPUTE_PGM_RSRC2:TGID_X_EN: 1
; COMPUTE_PGM_RSRC2:TGID_Y_EN: 0
; COMPUTE_PGM_RSRC2:TGID_Z_EN: 0
; COMPUTE_PGM_RSRC2:TIDIG_COMP_CNT: 0
	.section	.text._Z20store_kv_cache_256x1ImEvPmS0_PKT_mPKmS5_mmm,"axG",@progbits,_Z20store_kv_cache_256x1ImEvPmS0_PKT_mPKmS5_mmm,comdat
	.protected	_Z20store_kv_cache_256x1ImEvPmS0_PKT_mPKmS5_mmm ; -- Begin function _Z20store_kv_cache_256x1ImEvPmS0_PKT_mPKmS5_mmm
	.globl	_Z20store_kv_cache_256x1ImEvPmS0_PKT_mPKmS5_mmm
	.p2align	8
	.type	_Z20store_kv_cache_256x1ImEvPmS0_PKT_mPKmS5_mmm,@function
_Z20store_kv_cache_256x1ImEvPmS0_PKT_mPKmS5_mmm: ; @_Z20store_kv_cache_256x1ImEvPmS0_PKT_mPKmS5_mmm
; %bb.0:
	s_load_dword s2, s[4:5], 0x54
	s_load_dwordx2 s[0:1], s[4:5], 0x18
	v_mov_b32_e32 v1, 0
	s_waitcnt lgkmcnt(0)
	s_and_b32 s2, s2, 0xffff
	s_mul_i32 s6, s6, s2
	v_add_u32_e32 v2, s6, v0
	v_lshrrev_b32_e32 v0, 6, v2
	v_cmp_gt_u64_e32 vcc, s[0:1], v[0:1]
	s_and_saveexec_b64 s[0:1], vcc
	s_cbranch_execz .LBB2_4
; %bb.1:
	s_load_dwordx2 s[6:7], s[4:5], 0x40
	s_waitcnt lgkmcnt(0)
	s_cmp_eq_u64 s[6:7], 0
	s_cbranch_scc1 .LBB2_4
; %bb.2:
	s_load_dwordx2 s[0:1], s[4:5], 0x10
	v_lshlrev_b32_e32 v1, 3, v0
	s_waitcnt lgkmcnt(0)
	global_load_dwordx2 v[3:4], v1, s[0:1]
	s_load_dwordx8 s[8:15], s[4:5], 0x20
	s_load_dwordx4 s[0:3], s[4:5], 0x0
	v_and_b32_e32 v1, 63, v2
	v_lshlrev_b32_e32 v7, 3, v1
	s_waitcnt lgkmcnt(0)
	v_mad_u64_u32 v[5:6], s[4:5], s14, v0, 0
	v_mov_b32_e32 v2, s9
	v_mov_b32_e32 v9, s11
	;; [unrolled: 1-line block ×3, first 2 shown]
	v_mad_u64_u32 v[0:1], s[4:5], s15, v0, v[1:2]
	v_mov_b32_e32 v8, s1
	v_mov_b32_e32 v10, s3
	;; [unrolled: 1-line block ×3, first 2 shown]
	v_lshlrev_b64 v[0:1], 3, v[5:6]
	v_add_co_u32_e32 v6, vcc, v0, v7
	v_addc_co_u32_e32 v11, vcc, 0, v1, vcc
	v_add_co_u32_e32 v0, vcc, s8, v6
	v_addc_co_u32_e32 v1, vcc, v2, v11, vcc
	v_add_co_u32_e32 v2, vcc, s10, v6
	s_waitcnt vmcnt(0)
	v_mul_lo_u32 v12, v4, s12
	v_mul_lo_u32 v13, v3, s13
	v_mad_u64_u32 v[4:5], s[4:5], v3, s12, 0
	v_addc_co_u32_e32 v3, vcc, v9, v11, vcc
	v_add3_u32 v5, v5, v13, v12
	v_lshlrev_b64 v[4:5], 3, v[4:5]
	v_add_co_u32_e32 v6, vcc, v4, v7
	v_addc_co_u32_e32 v7, vcc, 0, v5, vcc
	v_add_co_u32_e32 v4, vcc, s0, v6
	v_addc_co_u32_e32 v5, vcc, v8, v7, vcc
	;; [unrolled: 2-line block ×3, first 2 shown]
.LBB2_3:                                ; =>This Inner Loop Header: Depth=1
	global_load_dwordx2 v[8:9], v[0:1], off
	global_load_dwordx2 v[10:11], v[2:3], off
	v_add_co_u32_e32 v0, vcc, 0x200, v0
	v_addc_co_u32_e32 v1, vcc, 0, v1, vcc
	s_add_u32 s6, s6, -1
	s_addc_u32 s7, s7, -1
	s_cmp_lg_u64 s[6:7], 0
	s_waitcnt vmcnt(1)
	global_store_dwordx2 v[4:5], v[8:9], off
	s_waitcnt vmcnt(1)
	global_store_dwordx2 v[6:7], v[10:11], off
	v_add_co_u32_e32 v4, vcc, 0x200, v4
	v_addc_co_u32_e32 v5, vcc, 0, v5, vcc
	v_add_co_u32_e32 v2, vcc, 0x200, v2
	v_addc_co_u32_e32 v3, vcc, 0, v3, vcc
	;; [unrolled: 2-line block ×3, first 2 shown]
	s_cbranch_scc1 .LBB2_3
.LBB2_4:
	s_endpgm
	.section	.rodata,"a",@progbits
	.p2align	6, 0x0
	.amdhsa_kernel _Z20store_kv_cache_256x1ImEvPmS0_PKT_mPKmS5_mmm
		.amdhsa_group_segment_fixed_size 0
		.amdhsa_private_segment_fixed_size 0
		.amdhsa_kernarg_size 328
		.amdhsa_user_sgpr_count 6
		.amdhsa_user_sgpr_private_segment_buffer 1
		.amdhsa_user_sgpr_dispatch_ptr 0
		.amdhsa_user_sgpr_queue_ptr 0
		.amdhsa_user_sgpr_kernarg_segment_ptr 1
		.amdhsa_user_sgpr_dispatch_id 0
		.amdhsa_user_sgpr_flat_scratch_init 0
		.amdhsa_user_sgpr_private_segment_size 0
		.amdhsa_uses_dynamic_stack 0
		.amdhsa_system_sgpr_private_segment_wavefront_offset 0
		.amdhsa_system_sgpr_workgroup_id_x 1
		.amdhsa_system_sgpr_workgroup_id_y 0
		.amdhsa_system_sgpr_workgroup_id_z 0
		.amdhsa_system_sgpr_workgroup_info 0
		.amdhsa_system_vgpr_workitem_id 0
		.amdhsa_next_free_vgpr 14
		.amdhsa_next_free_sgpr 16
		.amdhsa_reserve_vcc 1
		.amdhsa_reserve_flat_scratch 0
		.amdhsa_float_round_mode_32 0
		.amdhsa_float_round_mode_16_64 0
		.amdhsa_float_denorm_mode_32 3
		.amdhsa_float_denorm_mode_16_64 3
		.amdhsa_dx10_clamp 1
		.amdhsa_ieee_mode 1
		.amdhsa_fp16_overflow 0
		.amdhsa_exception_fp_ieee_invalid_op 0
		.amdhsa_exception_fp_denorm_src 0
		.amdhsa_exception_fp_ieee_div_zero 0
		.amdhsa_exception_fp_ieee_overflow 0
		.amdhsa_exception_fp_ieee_underflow 0
		.amdhsa_exception_fp_ieee_inexact 0
		.amdhsa_exception_int_div_zero 0
	.end_amdhsa_kernel
	.section	.text._Z20store_kv_cache_256x1ImEvPmS0_PKT_mPKmS5_mmm,"axG",@progbits,_Z20store_kv_cache_256x1ImEvPmS0_PKT_mPKmS5_mmm,comdat
.Lfunc_end2:
	.size	_Z20store_kv_cache_256x1ImEvPmS0_PKT_mPKmS5_mmm, .Lfunc_end2-_Z20store_kv_cache_256x1ImEvPmS0_PKT_mPKmS5_mmm
                                        ; -- End function
	.set _Z20store_kv_cache_256x1ImEvPmS0_PKT_mPKmS5_mmm.num_vgpr, 14
	.set _Z20store_kv_cache_256x1ImEvPmS0_PKT_mPKmS5_mmm.num_agpr, 0
	.set _Z20store_kv_cache_256x1ImEvPmS0_PKT_mPKmS5_mmm.numbered_sgpr, 16
	.set _Z20store_kv_cache_256x1ImEvPmS0_PKT_mPKmS5_mmm.num_named_barrier, 0
	.set _Z20store_kv_cache_256x1ImEvPmS0_PKT_mPKmS5_mmm.private_seg_size, 0
	.set _Z20store_kv_cache_256x1ImEvPmS0_PKT_mPKmS5_mmm.uses_vcc, 1
	.set _Z20store_kv_cache_256x1ImEvPmS0_PKT_mPKmS5_mmm.uses_flat_scratch, 0
	.set _Z20store_kv_cache_256x1ImEvPmS0_PKT_mPKmS5_mmm.has_dyn_sized_stack, 0
	.set _Z20store_kv_cache_256x1ImEvPmS0_PKT_mPKmS5_mmm.has_recursion, 0
	.set _Z20store_kv_cache_256x1ImEvPmS0_PKT_mPKmS5_mmm.has_indirect_call, 0
	.section	.AMDGPU.csdata,"",@progbits
; Kernel info:
; codeLenInByte = 376
; TotalNumSgprs: 20
; NumVgprs: 14
; ScratchSize: 0
; MemoryBound: 0
; FloatMode: 240
; IeeeMode: 1
; LDSByteSize: 0 bytes/workgroup (compile time only)
; SGPRBlocks: 2
; VGPRBlocks: 3
; NumSGPRsForWavesPerEU: 20
; NumVGPRsForWavesPerEU: 14
; Occupancy: 10
; WaveLimiterHint : 0
; COMPUTE_PGM_RSRC2:SCRATCH_EN: 0
; COMPUTE_PGM_RSRC2:USER_SGPR: 6
; COMPUTE_PGM_RSRC2:TRAP_HANDLER: 0
; COMPUTE_PGM_RSRC2:TGID_X_EN: 1
; COMPUTE_PGM_RSRC2:TGID_Y_EN: 0
; COMPUTE_PGM_RSRC2:TGID_Z_EN: 0
; COMPUTE_PGM_RSRC2:TIDIG_COMP_CNT: 0
	.section	.text._Z20store_kv_cache_128x2ImEvPmS0_PKT_mPKmS5_mmm,"axG",@progbits,_Z20store_kv_cache_128x2ImEvPmS0_PKT_mPKmS5_mmm,comdat
	.protected	_Z20store_kv_cache_128x2ImEvPmS0_PKT_mPKmS5_mmm ; -- Begin function _Z20store_kv_cache_128x2ImEvPmS0_PKT_mPKmS5_mmm
	.globl	_Z20store_kv_cache_128x2ImEvPmS0_PKT_mPKmS5_mmm
	.p2align	8
	.type	_Z20store_kv_cache_128x2ImEvPmS0_PKT_mPKmS5_mmm,@function
_Z20store_kv_cache_128x2ImEvPmS0_PKT_mPKmS5_mmm: ; @_Z20store_kv_cache_128x2ImEvPmS0_PKT_mPKmS5_mmm
; %bb.0:
	s_load_dword s2, s[4:5], 0x54
	s_load_dwordx2 s[0:1], s[4:5], 0x18
	v_mov_b32_e32 v1, 0
	s_waitcnt lgkmcnt(0)
	s_and_b32 s2, s2, 0xffff
	s_mul_i32 s6, s6, s2
	v_add_u32_e32 v2, s6, v0
	v_lshrrev_b32_e32 v0, 6, v2
	v_cmp_gt_u64_e32 vcc, s[0:1], v[0:1]
	s_and_saveexec_b64 s[0:1], vcc
	s_cbranch_execz .LBB3_4
; %bb.1:
	s_load_dwordx2 s[0:1], s[4:5], 0x40
	s_waitcnt lgkmcnt(0)
	s_cmp_eq_u64 s[0:1], 0
	s_cbranch_scc1 .LBB3_4
; %bb.2:
	s_load_dwordx2 s[2:3], s[4:5], 0x10
	v_lshlrev_b32_e32 v1, 3, v0
	v_and_b32_e32 v5, 32, v2
	v_cmp_eq_u32_e32 vcc, 0, v5
	s_waitcnt lgkmcnt(0)
	global_load_dwordx2 v[3:4], v1, s[2:3]
	s_load_dwordx4 s[16:19], s[4:5], 0x0
	s_load_dwordx8 s[8:15], s[4:5], 0x20
	v_and_b32_e32 v1, 31, v2
	v_lshlrev_b32_e32 v7, 3, v1
	s_waitcnt lgkmcnt(0)
	v_mov_b32_e32 v6, s19
	v_mad_u64_u32 v[1:2], s[2:3], s14, v0, 0
	v_mov_b32_e32 v8, s17
	v_cndmask_b32_e32 v8, v6, v8, vcc
	v_mov_b32_e32 v9, s18
	v_mov_b32_e32 v10, s16
	;; [unrolled: 1-line block ×6, first 2 shown]
	s_waitcnt vmcnt(0)
	v_mad_u64_u32 v[5:6], s[2:3], s15, v0, v[2:3]
	v_mul_lo_u32 v4, v4, s12
	v_cndmask_b32_e32 v6, v9, v10, vcc
	v_mov_b32_e32 v2, v5
	v_lshlrev_b64 v[0:1], 3, v[1:2]
	v_mul_lo_u32 v5, v3, s13
	v_mad_u64_u32 v[2:3], s[2:3], v3, s12, 0
	v_cndmask_b32_e32 v9, v11, v12, vcc
	v_cndmask_b32_e32 v10, v13, v14, vcc
	v_add_co_u32_e32 v0, vcc, v0, v7
	v_addc_co_u32_e32 v1, vcc, 0, v1, vcc
	v_add3_u32 v3, v3, v5, v4
	v_add_co_u32_e32 v0, vcc, v10, v0
	v_lshlrev_b64 v[2:3], 3, v[2:3]
	v_addc_co_u32_e32 v1, vcc, v9, v1, vcc
	v_add_co_u32_e32 v2, vcc, v2, v7
	v_addc_co_u32_e32 v3, vcc, 0, v3, vcc
	v_add_co_u32_e32 v2, vcc, v6, v2
	v_addc_co_u32_e32 v3, vcc, v8, v3, vcc
.LBB3_3:                                ; =>This Inner Loop Header: Depth=1
	global_load_dwordx2 v[4:5], v[0:1], off
	v_add_co_u32_e32 v0, vcc, 0x100, v0
	s_add_u32 s0, s0, -1
	v_addc_co_u32_e32 v1, vcc, 0, v1, vcc
	s_addc_u32 s1, s1, -1
	s_cmp_lg_u64 s[0:1], 0
	s_waitcnt vmcnt(0)
	global_store_dwordx2 v[2:3], v[4:5], off
	v_add_co_u32_e32 v2, vcc, 0x100, v2
	v_addc_co_u32_e32 v3, vcc, 0, v3, vcc
	s_cbranch_scc1 .LBB3_3
.LBB3_4:
	s_endpgm
	.section	.rodata,"a",@progbits
	.p2align	6, 0x0
	.amdhsa_kernel _Z20store_kv_cache_128x2ImEvPmS0_PKT_mPKmS5_mmm
		.amdhsa_group_segment_fixed_size 0
		.amdhsa_private_segment_fixed_size 0
		.amdhsa_kernarg_size 328
		.amdhsa_user_sgpr_count 6
		.amdhsa_user_sgpr_private_segment_buffer 1
		.amdhsa_user_sgpr_dispatch_ptr 0
		.amdhsa_user_sgpr_queue_ptr 0
		.amdhsa_user_sgpr_kernarg_segment_ptr 1
		.amdhsa_user_sgpr_dispatch_id 0
		.amdhsa_user_sgpr_flat_scratch_init 0
		.amdhsa_user_sgpr_private_segment_size 0
		.amdhsa_uses_dynamic_stack 0
		.amdhsa_system_sgpr_private_segment_wavefront_offset 0
		.amdhsa_system_sgpr_workgroup_id_x 1
		.amdhsa_system_sgpr_workgroup_id_y 0
		.amdhsa_system_sgpr_workgroup_id_z 0
		.amdhsa_system_sgpr_workgroup_info 0
		.amdhsa_system_vgpr_workitem_id 0
		.amdhsa_next_free_vgpr 15
		.amdhsa_next_free_sgpr 20
		.amdhsa_reserve_vcc 1
		.amdhsa_reserve_flat_scratch 0
		.amdhsa_float_round_mode_32 0
		.amdhsa_float_round_mode_16_64 0
		.amdhsa_float_denorm_mode_32 3
		.amdhsa_float_denorm_mode_16_64 3
		.amdhsa_dx10_clamp 1
		.amdhsa_ieee_mode 1
		.amdhsa_fp16_overflow 0
		.amdhsa_exception_fp_ieee_invalid_op 0
		.amdhsa_exception_fp_denorm_src 0
		.amdhsa_exception_fp_ieee_div_zero 0
		.amdhsa_exception_fp_ieee_overflow 0
		.amdhsa_exception_fp_ieee_underflow 0
		.amdhsa_exception_fp_ieee_inexact 0
		.amdhsa_exception_int_div_zero 0
	.end_amdhsa_kernel
	.section	.text._Z20store_kv_cache_128x2ImEvPmS0_PKT_mPKmS5_mmm,"axG",@progbits,_Z20store_kv_cache_128x2ImEvPmS0_PKT_mPKmS5_mmm,comdat
.Lfunc_end3:
	.size	_Z20store_kv_cache_128x2ImEvPmS0_PKT_mPKmS5_mmm, .Lfunc_end3-_Z20store_kv_cache_128x2ImEvPmS0_PKT_mPKmS5_mmm
                                        ; -- End function
	.set _Z20store_kv_cache_128x2ImEvPmS0_PKT_mPKmS5_mmm.num_vgpr, 15
	.set _Z20store_kv_cache_128x2ImEvPmS0_PKT_mPKmS5_mmm.num_agpr, 0
	.set _Z20store_kv_cache_128x2ImEvPmS0_PKT_mPKmS5_mmm.numbered_sgpr, 20
	.set _Z20store_kv_cache_128x2ImEvPmS0_PKT_mPKmS5_mmm.num_named_barrier, 0
	.set _Z20store_kv_cache_128x2ImEvPmS0_PKT_mPKmS5_mmm.private_seg_size, 0
	.set _Z20store_kv_cache_128x2ImEvPmS0_PKT_mPKmS5_mmm.uses_vcc, 1
	.set _Z20store_kv_cache_128x2ImEvPmS0_PKT_mPKmS5_mmm.uses_flat_scratch, 0
	.set _Z20store_kv_cache_128x2ImEvPmS0_PKT_mPKmS5_mmm.has_dyn_sized_stack, 0
	.set _Z20store_kv_cache_128x2ImEvPmS0_PKT_mPKmS5_mmm.has_recursion, 0
	.set _Z20store_kv_cache_128x2ImEvPmS0_PKT_mPKmS5_mmm.has_indirect_call, 0
	.section	.AMDGPU.csdata,"",@progbits
; Kernel info:
; codeLenInByte = 352
; TotalNumSgprs: 24
; NumVgprs: 15
; ScratchSize: 0
; MemoryBound: 0
; FloatMode: 240
; IeeeMode: 1
; LDSByteSize: 0 bytes/workgroup (compile time only)
; SGPRBlocks: 2
; VGPRBlocks: 3
; NumSGPRsForWavesPerEU: 24
; NumVGPRsForWavesPerEU: 15
; Occupancy: 10
; WaveLimiterHint : 0
; COMPUTE_PGM_RSRC2:SCRATCH_EN: 0
; COMPUTE_PGM_RSRC2:USER_SGPR: 6
; COMPUTE_PGM_RSRC2:TRAP_HANDLER: 0
; COMPUTE_PGM_RSRC2:TGID_X_EN: 1
; COMPUTE_PGM_RSRC2:TGID_Y_EN: 0
; COMPUTE_PGM_RSRC2:TGID_Z_EN: 0
; COMPUTE_PGM_RSRC2:TIDIG_COMP_CNT: 0
	.section	.AMDGPU.gpr_maximums,"",@progbits
	.set amdgpu.max_num_vgpr, 0
	.set amdgpu.max_num_agpr, 0
	.set amdgpu.max_num_sgpr, 0
	.section	.AMDGPU.csdata,"",@progbits
	.type	__hip_cuid_c918dee7f3fb7d85,@object ; @__hip_cuid_c918dee7f3fb7d85
	.section	.bss,"aw",@nobits
	.globl	__hip_cuid_c918dee7f3fb7d85
__hip_cuid_c918dee7f3fb7d85:
	.byte	0                               ; 0x0
	.size	__hip_cuid_c918dee7f3fb7d85, 1

	.ident	"AMD clang version 22.0.0git (https://github.com/RadeonOpenCompute/llvm-project roc-7.2.4 26084 f58b06dce1f9c15707c5f808fd002e18c2accf7e)"
	.section	".note.GNU-stack","",@progbits
	.addrsig
	.addrsig_sym __hip_cuid_c918dee7f3fb7d85
	.amdgpu_metadata
---
amdhsa.kernels:
  - .args:
      - .actual_access:  write_only
        .address_space:  global
        .offset:         0
        .size:           8
        .value_kind:     global_buffer
      - .actual_access:  write_only
        .address_space:  global
        .offset:         8
        .size:           8
        .value_kind:     global_buffer
      - .actual_access:  read_only
        .address_space:  global
        .offset:         16
        .size:           8
        .value_kind:     global_buffer
      - .offset:         24
        .size:           8
        .value_kind:     by_value
      - .actual_access:  read_only
        .address_space:  global
        .offset:         32
        .size:           8
        .value_kind:     global_buffer
      - .actual_access:  read_only
        .address_space:  global
        .offset:         40
        .size:           8
        .value_kind:     global_buffer
      - .offset:         48
        .size:           8
        .value_kind:     by_value
      - .offset:         56
        .size:           8
        .value_kind:     by_value
      - .offset:         64
        .size:           8
        .value_kind:     by_value
      - .offset:         72
        .size:           4
        .value_kind:     hidden_block_count_x
      - .offset:         76
        .size:           4
        .value_kind:     hidden_block_count_y
      - .offset:         80
        .size:           4
        .value_kind:     hidden_block_count_z
      - .offset:         84
        .size:           2
        .value_kind:     hidden_group_size_x
      - .offset:         86
        .size:           2
        .value_kind:     hidden_group_size_y
      - .offset:         88
        .size:           2
        .value_kind:     hidden_group_size_z
      - .offset:         90
        .size:           2
        .value_kind:     hidden_remainder_x
      - .offset:         92
        .size:           2
        .value_kind:     hidden_remainder_y
      - .offset:         94
        .size:           2
        .value_kind:     hidden_remainder_z
      - .offset:         112
        .size:           8
        .value_kind:     hidden_global_offset_x
      - .offset:         120
        .size:           8
        .value_kind:     hidden_global_offset_y
      - .offset:         128
        .size:           8
        .value_kind:     hidden_global_offset_z
      - .offset:         136
        .size:           2
        .value_kind:     hidden_grid_dims
    .group_segment_fixed_size: 0
    .kernarg_segment_align: 8
    .kernarg_segment_size: 328
    .language:       OpenCL C
    .language_version:
      - 2
      - 0
    .max_flat_workgroup_size: 1024
    .name:           _Z23store_kv_cache_256x1_v4ImEvPmS0_PKT_mPKmS5_mmm
    .private_segment_fixed_size: 0
    .sgpr_count:     20
    .sgpr_spill_count: 0
    .symbol:         _Z23store_kv_cache_256x1_v4ImEvPmS0_PKT_mPKmS5_mmm.kd
    .uniform_work_group_size: 1
    .uses_dynamic_stack: false
    .vgpr_count:     20
    .vgpr_spill_count: 0
    .wavefront_size: 64
  - .args:
      - .actual_access:  write_only
        .address_space:  global
        .offset:         0
        .size:           8
        .value_kind:     global_buffer
      - .actual_access:  write_only
        .address_space:  global
        .offset:         8
        .size:           8
        .value_kind:     global_buffer
      - .actual_access:  read_only
        .address_space:  global
        .offset:         16
        .size:           8
        .value_kind:     global_buffer
      - .offset:         24
        .size:           8
        .value_kind:     by_value
      - .actual_access:  read_only
        .address_space:  global
        .offset:         32
        .size:           8
        .value_kind:     global_buffer
      - .actual_access:  read_only
        .address_space:  global
        .offset:         40
        .size:           8
        .value_kind:     global_buffer
      - .offset:         48
        .size:           8
        .value_kind:     by_value
      - .offset:         56
        .size:           8
        .value_kind:     by_value
      - .offset:         64
        .size:           8
        .value_kind:     by_value
      - .offset:         72
        .size:           4
        .value_kind:     hidden_block_count_x
      - .offset:         76
        .size:           4
        .value_kind:     hidden_block_count_y
      - .offset:         80
        .size:           4
        .value_kind:     hidden_block_count_z
      - .offset:         84
        .size:           2
        .value_kind:     hidden_group_size_x
      - .offset:         86
        .size:           2
        .value_kind:     hidden_group_size_y
      - .offset:         88
        .size:           2
        .value_kind:     hidden_group_size_z
      - .offset:         90
        .size:           2
        .value_kind:     hidden_remainder_x
      - .offset:         92
        .size:           2
        .value_kind:     hidden_remainder_y
      - .offset:         94
        .size:           2
        .value_kind:     hidden_remainder_z
      - .offset:         112
        .size:           8
        .value_kind:     hidden_global_offset_x
      - .offset:         120
        .size:           8
        .value_kind:     hidden_global_offset_y
      - .offset:         128
        .size:           8
        .value_kind:     hidden_global_offset_z
      - .offset:         136
        .size:           2
        .value_kind:     hidden_grid_dims
    .group_segment_fixed_size: 0
    .kernarg_segment_align: 8
    .kernarg_segment_size: 328
    .language:       OpenCL C
    .language_version:
      - 2
      - 0
    .max_flat_workgroup_size: 1024
    .name:           _Z23store_kv_cache_256x1_v2ImEvPmS0_PKT_mPKmS5_mmm
    .private_segment_fixed_size: 0
    .sgpr_count:     20
    .sgpr_spill_count: 0
    .symbol:         _Z23store_kv_cache_256x1_v2ImEvPmS0_PKT_mPKmS5_mmm.kd
    .uniform_work_group_size: 1
    .uses_dynamic_stack: false
    .vgpr_count:     16
    .vgpr_spill_count: 0
    .wavefront_size: 64
  - .args:
      - .actual_access:  write_only
        .address_space:  global
        .offset:         0
        .size:           8
        .value_kind:     global_buffer
      - .actual_access:  write_only
        .address_space:  global
        .offset:         8
        .size:           8
        .value_kind:     global_buffer
      - .actual_access:  read_only
        .address_space:  global
        .offset:         16
        .size:           8
        .value_kind:     global_buffer
      - .offset:         24
        .size:           8
        .value_kind:     by_value
      - .actual_access:  read_only
        .address_space:  global
        .offset:         32
        .size:           8
        .value_kind:     global_buffer
      - .actual_access:  read_only
        .address_space:  global
        .offset:         40
        .size:           8
        .value_kind:     global_buffer
      - .offset:         48
        .size:           8
        .value_kind:     by_value
      - .offset:         56
        .size:           8
        .value_kind:     by_value
      - .offset:         64
        .size:           8
        .value_kind:     by_value
      - .offset:         72
        .size:           4
        .value_kind:     hidden_block_count_x
      - .offset:         76
        .size:           4
        .value_kind:     hidden_block_count_y
      - .offset:         80
        .size:           4
        .value_kind:     hidden_block_count_z
      - .offset:         84
        .size:           2
        .value_kind:     hidden_group_size_x
      - .offset:         86
        .size:           2
        .value_kind:     hidden_group_size_y
      - .offset:         88
        .size:           2
        .value_kind:     hidden_group_size_z
      - .offset:         90
        .size:           2
        .value_kind:     hidden_remainder_x
      - .offset:         92
        .size:           2
        .value_kind:     hidden_remainder_y
      - .offset:         94
        .size:           2
        .value_kind:     hidden_remainder_z
      - .offset:         112
        .size:           8
        .value_kind:     hidden_global_offset_x
      - .offset:         120
        .size:           8
        .value_kind:     hidden_global_offset_y
      - .offset:         128
        .size:           8
        .value_kind:     hidden_global_offset_z
      - .offset:         136
        .size:           2
        .value_kind:     hidden_grid_dims
    .group_segment_fixed_size: 0
    .kernarg_segment_align: 8
    .kernarg_segment_size: 328
    .language:       OpenCL C
    .language_version:
      - 2
      - 0
    .max_flat_workgroup_size: 1024
    .name:           _Z20store_kv_cache_256x1ImEvPmS0_PKT_mPKmS5_mmm
    .private_segment_fixed_size: 0
    .sgpr_count:     20
    .sgpr_spill_count: 0
    .symbol:         _Z20store_kv_cache_256x1ImEvPmS0_PKT_mPKmS5_mmm.kd
    .uniform_work_group_size: 1
    .uses_dynamic_stack: false
    .vgpr_count:     14
    .vgpr_spill_count: 0
    .wavefront_size: 64
  - .args:
      - .actual_access:  write_only
        .address_space:  global
        .offset:         0
        .size:           8
        .value_kind:     global_buffer
      - .actual_access:  write_only
        .address_space:  global
        .offset:         8
        .size:           8
        .value_kind:     global_buffer
      - .actual_access:  read_only
        .address_space:  global
        .offset:         16
        .size:           8
        .value_kind:     global_buffer
      - .offset:         24
        .size:           8
        .value_kind:     by_value
      - .actual_access:  read_only
        .address_space:  global
        .offset:         32
        .size:           8
        .value_kind:     global_buffer
      - .actual_access:  read_only
        .address_space:  global
        .offset:         40
        .size:           8
        .value_kind:     global_buffer
      - .offset:         48
        .size:           8
        .value_kind:     by_value
      - .offset:         56
        .size:           8
        .value_kind:     by_value
      - .offset:         64
        .size:           8
        .value_kind:     by_value
      - .offset:         72
        .size:           4
        .value_kind:     hidden_block_count_x
      - .offset:         76
        .size:           4
        .value_kind:     hidden_block_count_y
      - .offset:         80
        .size:           4
        .value_kind:     hidden_block_count_z
      - .offset:         84
        .size:           2
        .value_kind:     hidden_group_size_x
      - .offset:         86
        .size:           2
        .value_kind:     hidden_group_size_y
      - .offset:         88
        .size:           2
        .value_kind:     hidden_group_size_z
      - .offset:         90
        .size:           2
        .value_kind:     hidden_remainder_x
      - .offset:         92
        .size:           2
        .value_kind:     hidden_remainder_y
      - .offset:         94
        .size:           2
        .value_kind:     hidden_remainder_z
      - .offset:         112
        .size:           8
        .value_kind:     hidden_global_offset_x
      - .offset:         120
        .size:           8
        .value_kind:     hidden_global_offset_y
      - .offset:         128
        .size:           8
        .value_kind:     hidden_global_offset_z
      - .offset:         136
        .size:           2
        .value_kind:     hidden_grid_dims
    .group_segment_fixed_size: 0
    .kernarg_segment_align: 8
    .kernarg_segment_size: 328
    .language:       OpenCL C
    .language_version:
      - 2
      - 0
    .max_flat_workgroup_size: 1024
    .name:           _Z20store_kv_cache_128x2ImEvPmS0_PKT_mPKmS5_mmm
    .private_segment_fixed_size: 0
    .sgpr_count:     24
    .sgpr_spill_count: 0
    .symbol:         _Z20store_kv_cache_128x2ImEvPmS0_PKT_mPKmS5_mmm.kd
    .uniform_work_group_size: 1
    .uses_dynamic_stack: false
    .vgpr_count:     15
    .vgpr_spill_count: 0
    .wavefront_size: 64
amdhsa.target:   amdgcn-amd-amdhsa--gfx906
amdhsa.version:
  - 1
  - 2
...

	.end_amdgpu_metadata
